;; amdgpu-corpus repo=ROCm/rocFFT kind=compiled arch=gfx1201 opt=O3
	.text
	.amdgcn_target "amdgcn-amd-amdhsa--gfx1201"
	.amdhsa_code_object_version 6
	.protected	fft_rtc_back_len224_factors_7_2_2_2_2_2_wgs_64_tpt_16_halfLds_half_op_CI_CI_unitstride_sbrr_R2C_dirReg ; -- Begin function fft_rtc_back_len224_factors_7_2_2_2_2_2_wgs_64_tpt_16_halfLds_half_op_CI_CI_unitstride_sbrr_R2C_dirReg
	.globl	fft_rtc_back_len224_factors_7_2_2_2_2_2_wgs_64_tpt_16_halfLds_half_op_CI_CI_unitstride_sbrr_R2C_dirReg
	.p2align	8
	.type	fft_rtc_back_len224_factors_7_2_2_2_2_2_wgs_64_tpt_16_halfLds_half_op_CI_CI_unitstride_sbrr_R2C_dirReg,@function
fft_rtc_back_len224_factors_7_2_2_2_2_2_wgs_64_tpt_16_halfLds_half_op_CI_CI_unitstride_sbrr_R2C_dirReg: ; @fft_rtc_back_len224_factors_7_2_2_2_2_2_wgs_64_tpt_16_halfLds_half_op_CI_CI_unitstride_sbrr_R2C_dirReg
; %bb.0:
	s_clause 0x2
	s_load_b128 s[8:11], s[0:1], 0x0
	s_load_b128 s[4:7], s[0:1], 0x58
	;; [unrolled: 1-line block ×3, first 2 shown]
	v_lshrrev_b32_e32 v21, 4, v0
	v_mov_b32_e32 v3, 0
	v_mov_b32_e32 v19, 0
	;; [unrolled: 1-line block ×3, first 2 shown]
	s_delay_alu instid0(VALU_DEP_4) | instskip(NEXT) | instid1(VALU_DEP_4)
	v_lshl_or_b32 v7, ttmp9, 2, v21
	v_mov_b32_e32 v8, v3
	s_wait_kmcnt 0x0
	v_cmp_lt_u64_e64 s2, s[10:11], 2
	s_delay_alu instid0(VALU_DEP_1)
	s_and_b32 vcc_lo, exec_lo, s2
	s_cbranch_vccnz .LBB0_8
; %bb.1:
	s_load_b64 s[2:3], s[0:1], 0x10
	v_mov_b32_e32 v19, 0
	v_mov_b32_e32 v20, 0
	s_delay_alu instid0(VALU_DEP_2)
	v_mov_b32_e32 v1, v19
	s_add_nc_u64 s[16:17], s[14:15], 8
	s_add_nc_u64 s[18:19], s[12:13], 8
	s_mov_b64 s[20:21], 1
	v_mov_b32_e32 v2, v20
	s_wait_kmcnt 0x0
	s_add_nc_u64 s[22:23], s[2:3], 8
	s_mov_b32 s3, 0
.LBB0_2:                                ; =>This Inner Loop Header: Depth=1
	s_load_b64 s[24:25], s[22:23], 0x0
                                        ; implicit-def: $vgpr5_vgpr6
	s_mov_b32 s2, exec_lo
	s_wait_kmcnt 0x0
	v_or_b32_e32 v4, s25, v8
	s_delay_alu instid0(VALU_DEP_1)
	v_cmpx_ne_u64_e32 0, v[3:4]
	s_wait_alu 0xfffe
	s_xor_b32 s26, exec_lo, s2
	s_cbranch_execz .LBB0_4
; %bb.3:                                ;   in Loop: Header=BB0_2 Depth=1
	s_cvt_f32_u32 s2, s24
	s_cvt_f32_u32 s27, s25
	s_sub_nc_u64 s[30:31], 0, s[24:25]
	s_wait_alu 0xfffe
	s_delay_alu instid0(SALU_CYCLE_1) | instskip(SKIP_1) | instid1(SALU_CYCLE_2)
	s_fmamk_f32 s2, s27, 0x4f800000, s2
	s_wait_alu 0xfffe
	v_s_rcp_f32 s2, s2
	s_delay_alu instid0(TRANS32_DEP_1) | instskip(SKIP_1) | instid1(SALU_CYCLE_2)
	s_mul_f32 s2, s2, 0x5f7ffffc
	s_wait_alu 0xfffe
	s_mul_f32 s27, s2, 0x2f800000
	s_wait_alu 0xfffe
	s_delay_alu instid0(SALU_CYCLE_2) | instskip(SKIP_1) | instid1(SALU_CYCLE_2)
	s_trunc_f32 s27, s27
	s_wait_alu 0xfffe
	s_fmamk_f32 s2, s27, 0xcf800000, s2
	s_cvt_u32_f32 s29, s27
	s_wait_alu 0xfffe
	s_delay_alu instid0(SALU_CYCLE_1) | instskip(SKIP_1) | instid1(SALU_CYCLE_2)
	s_cvt_u32_f32 s28, s2
	s_wait_alu 0xfffe
	s_mul_u64 s[34:35], s[30:31], s[28:29]
	s_wait_alu 0xfffe
	s_mul_hi_u32 s37, s28, s35
	s_mul_i32 s36, s28, s35
	s_mul_hi_u32 s2, s28, s34
	s_mul_i32 s33, s29, s34
	s_wait_alu 0xfffe
	s_add_nc_u64 s[36:37], s[2:3], s[36:37]
	s_mul_hi_u32 s27, s29, s34
	s_mul_hi_u32 s38, s29, s35
	s_add_co_u32 s2, s36, s33
	s_wait_alu 0xfffe
	s_add_co_ci_u32 s2, s37, s27
	s_mul_i32 s34, s29, s35
	s_add_co_ci_u32 s35, s38, 0
	s_wait_alu 0xfffe
	s_add_nc_u64 s[34:35], s[2:3], s[34:35]
	s_wait_alu 0xfffe
	v_add_co_u32 v4, s2, s28, s34
	s_delay_alu instid0(VALU_DEP_1) | instskip(SKIP_1) | instid1(VALU_DEP_1)
	s_cmp_lg_u32 s2, 0
	s_add_co_ci_u32 s29, s29, s35
	v_readfirstlane_b32 s28, v4
	s_wait_alu 0xfffe
	s_delay_alu instid0(VALU_DEP_1)
	s_mul_u64 s[30:31], s[30:31], s[28:29]
	s_wait_alu 0xfffe
	s_mul_hi_u32 s35, s28, s31
	s_mul_i32 s34, s28, s31
	s_mul_hi_u32 s2, s28, s30
	s_mul_i32 s33, s29, s30
	s_wait_alu 0xfffe
	s_add_nc_u64 s[34:35], s[2:3], s[34:35]
	s_mul_hi_u32 s27, s29, s30
	s_mul_hi_u32 s28, s29, s31
	s_wait_alu 0xfffe
	s_add_co_u32 s2, s34, s33
	s_add_co_ci_u32 s2, s35, s27
	s_mul_i32 s30, s29, s31
	s_add_co_ci_u32 s31, s28, 0
	s_wait_alu 0xfffe
	s_add_nc_u64 s[30:31], s[2:3], s[30:31]
	s_wait_alu 0xfffe
	v_add_co_u32 v6, s2, v4, s30
	s_delay_alu instid0(VALU_DEP_1) | instskip(SKIP_1) | instid1(VALU_DEP_1)
	s_cmp_lg_u32 s2, 0
	s_add_co_ci_u32 s2, s29, s31
	v_mul_hi_u32 v13, v7, v6
	s_wait_alu 0xfffe
	v_mad_co_u64_u32 v[4:5], null, v7, s2, 0
	v_mad_co_u64_u32 v[9:10], null, v8, v6, 0
	;; [unrolled: 1-line block ×3, first 2 shown]
	s_delay_alu instid0(VALU_DEP_3) | instskip(SKIP_1) | instid1(VALU_DEP_4)
	v_add_co_u32 v4, vcc_lo, v13, v4
	s_wait_alu 0xfffd
	v_add_co_ci_u32_e32 v5, vcc_lo, 0, v5, vcc_lo
	s_delay_alu instid0(VALU_DEP_2) | instskip(SKIP_1) | instid1(VALU_DEP_2)
	v_add_co_u32 v4, vcc_lo, v4, v9
	s_wait_alu 0xfffd
	v_add_co_ci_u32_e32 v4, vcc_lo, v5, v10, vcc_lo
	s_wait_alu 0xfffd
	v_add_co_ci_u32_e32 v5, vcc_lo, 0, v12, vcc_lo
	s_delay_alu instid0(VALU_DEP_2) | instskip(SKIP_1) | instid1(VALU_DEP_2)
	v_add_co_u32 v9, vcc_lo, v4, v11
	s_wait_alu 0xfffd
	v_add_co_ci_u32_e32 v6, vcc_lo, 0, v5, vcc_lo
	s_delay_alu instid0(VALU_DEP_2) | instskip(SKIP_1) | instid1(VALU_DEP_3)
	v_mul_lo_u32 v10, s25, v9
	v_mad_co_u64_u32 v[4:5], null, s24, v9, 0
	v_mul_lo_u32 v11, s24, v6
	s_delay_alu instid0(VALU_DEP_2) | instskip(NEXT) | instid1(VALU_DEP_2)
	v_sub_co_u32 v4, vcc_lo, v7, v4
	v_add3_u32 v5, v5, v11, v10
	s_delay_alu instid0(VALU_DEP_1) | instskip(SKIP_1) | instid1(VALU_DEP_1)
	v_sub_nc_u32_e32 v10, v8, v5
	s_wait_alu 0xfffd
	v_subrev_co_ci_u32_e64 v10, s2, s25, v10, vcc_lo
	v_add_co_u32 v11, s2, v9, 2
	s_wait_alu 0xf1ff
	v_add_co_ci_u32_e64 v12, s2, 0, v6, s2
	v_sub_co_u32 v13, s2, v4, s24
	v_sub_co_ci_u32_e32 v5, vcc_lo, v8, v5, vcc_lo
	s_wait_alu 0xf1ff
	v_subrev_co_ci_u32_e64 v10, s2, 0, v10, s2
	s_delay_alu instid0(VALU_DEP_3) | instskip(NEXT) | instid1(VALU_DEP_3)
	v_cmp_le_u32_e32 vcc_lo, s24, v13
	v_cmp_eq_u32_e64 s2, s25, v5
	s_wait_alu 0xfffd
	v_cndmask_b32_e64 v13, 0, -1, vcc_lo
	v_cmp_le_u32_e32 vcc_lo, s25, v10
	s_wait_alu 0xfffd
	v_cndmask_b32_e64 v14, 0, -1, vcc_lo
	v_cmp_le_u32_e32 vcc_lo, s24, v4
	;; [unrolled: 3-line block ×3, first 2 shown]
	s_wait_alu 0xfffd
	v_cndmask_b32_e64 v15, 0, -1, vcc_lo
	v_cmp_eq_u32_e32 vcc_lo, s25, v10
	s_wait_alu 0xf1ff
	s_delay_alu instid0(VALU_DEP_2)
	v_cndmask_b32_e64 v4, v15, v4, s2
	s_wait_alu 0xfffd
	v_cndmask_b32_e32 v10, v14, v13, vcc_lo
	v_add_co_u32 v13, vcc_lo, v9, 1
	s_wait_alu 0xfffd
	v_add_co_ci_u32_e32 v14, vcc_lo, 0, v6, vcc_lo
	s_delay_alu instid0(VALU_DEP_3) | instskip(SKIP_1) | instid1(VALU_DEP_2)
	v_cmp_ne_u32_e32 vcc_lo, 0, v10
	s_wait_alu 0xfffd
	v_dual_cndmask_b32 v5, v14, v12 :: v_dual_cndmask_b32 v10, v13, v11
	v_cmp_ne_u32_e32 vcc_lo, 0, v4
	s_wait_alu 0xfffd
	s_delay_alu instid0(VALU_DEP_2)
	v_dual_cndmask_b32 v6, v6, v5 :: v_dual_cndmask_b32 v5, v9, v10
.LBB0_4:                                ;   in Loop: Header=BB0_2 Depth=1
	s_wait_alu 0xfffe
	s_and_not1_saveexec_b32 s2, s26
	s_cbranch_execz .LBB0_6
; %bb.5:                                ;   in Loop: Header=BB0_2 Depth=1
	v_cvt_f32_u32_e32 v4, s24
	s_sub_co_i32 s26, 0, s24
	s_delay_alu instid0(VALU_DEP_1) | instskip(NEXT) | instid1(TRANS32_DEP_1)
	v_rcp_iflag_f32_e32 v4, v4
	v_mul_f32_e32 v4, 0x4f7ffffe, v4
	s_delay_alu instid0(VALU_DEP_1) | instskip(SKIP_1) | instid1(VALU_DEP_1)
	v_cvt_u32_f32_e32 v4, v4
	s_wait_alu 0xfffe
	v_mul_lo_u32 v5, s26, v4
	s_delay_alu instid0(VALU_DEP_1) | instskip(NEXT) | instid1(VALU_DEP_1)
	v_mul_hi_u32 v5, v4, v5
	v_add_nc_u32_e32 v4, v4, v5
	s_delay_alu instid0(VALU_DEP_1) | instskip(NEXT) | instid1(VALU_DEP_1)
	v_mul_hi_u32 v4, v7, v4
	v_mul_lo_u32 v5, v4, s24
	v_add_nc_u32_e32 v6, 1, v4
	s_delay_alu instid0(VALU_DEP_2) | instskip(NEXT) | instid1(VALU_DEP_1)
	v_sub_nc_u32_e32 v5, v7, v5
	v_subrev_nc_u32_e32 v9, s24, v5
	v_cmp_le_u32_e32 vcc_lo, s24, v5
	s_wait_alu 0xfffd
	s_delay_alu instid0(VALU_DEP_2) | instskip(NEXT) | instid1(VALU_DEP_1)
	v_dual_cndmask_b32 v5, v5, v9 :: v_dual_cndmask_b32 v4, v4, v6
	v_cmp_le_u32_e32 vcc_lo, s24, v5
	s_delay_alu instid0(VALU_DEP_2) | instskip(SKIP_1) | instid1(VALU_DEP_1)
	v_add_nc_u32_e32 v6, 1, v4
	s_wait_alu 0xfffd
	v_dual_cndmask_b32 v5, v4, v6 :: v_dual_mov_b32 v6, v3
.LBB0_6:                                ;   in Loop: Header=BB0_2 Depth=1
	s_wait_alu 0xfffe
	s_or_b32 exec_lo, exec_lo, s2
	s_delay_alu instid0(VALU_DEP_1) | instskip(NEXT) | instid1(VALU_DEP_2)
	v_mul_lo_u32 v4, v6, s24
	v_mul_lo_u32 v11, v5, s25
	s_load_b64 s[26:27], s[18:19], 0x0
	v_mad_co_u64_u32 v[9:10], null, v5, s24, 0
	s_load_b64 s[24:25], s[16:17], 0x0
	s_add_nc_u64 s[20:21], s[20:21], 1
	s_add_nc_u64 s[16:17], s[16:17], 8
	s_wait_alu 0xfffe
	v_cmp_ge_u64_e64 s2, s[20:21], s[10:11]
	s_add_nc_u64 s[18:19], s[18:19], 8
	s_add_nc_u64 s[22:23], s[22:23], 8
	v_add3_u32 v4, v10, v11, v4
	v_sub_co_u32 v7, vcc_lo, v7, v9
	s_wait_alu 0xfffd
	s_delay_alu instid0(VALU_DEP_2) | instskip(SKIP_2) | instid1(VALU_DEP_1)
	v_sub_co_ci_u32_e32 v4, vcc_lo, v8, v4, vcc_lo
	s_and_b32 vcc_lo, exec_lo, s2
	s_wait_kmcnt 0x0
	v_mul_lo_u32 v8, s26, v4
	v_mul_lo_u32 v9, s27, v7
	v_mad_co_u64_u32 v[19:20], null, s26, v7, v[19:20]
	v_mul_lo_u32 v4, s24, v4
	v_mul_lo_u32 v10, s25, v7
	v_mad_co_u64_u32 v[1:2], null, s24, v7, v[1:2]
	s_delay_alu instid0(VALU_DEP_4) | instskip(NEXT) | instid1(VALU_DEP_2)
	v_add3_u32 v20, v9, v20, v8
	v_add3_u32 v2, v10, v2, v4
	s_wait_alu 0xfffe
	s_cbranch_vccnz .LBB0_9
; %bb.7:                                ;   in Loop: Header=BB0_2 Depth=1
	v_dual_mov_b32 v8, v6 :: v_dual_mov_b32 v7, v5
	s_branch .LBB0_2
.LBB0_8:
	v_dual_mov_b32 v1, v19 :: v_dual_mov_b32 v2, v20
	v_dual_mov_b32 v5, v7 :: v_dual_mov_b32 v6, v8
.LBB0_9:
	s_load_b64 s[0:1], s[0:1], 0x28
	v_and_b32_e32 v3, 15, v0
	s_lshl_b64 s[10:11], s[10:11], 3
                                        ; implicit-def: $vgpr7
                                        ; implicit-def: $vgpr17
                                        ; implicit-def: $vgpr15
                                        ; implicit-def: $vgpr13
                                        ; implicit-def: $vgpr11
                                        ; implicit-def: $vgpr9
	s_wait_kmcnt 0x0
	v_cmp_gt_u64_e32 vcc_lo, s[0:1], v[5:6]
	v_cmp_le_u64_e64 s0, s[0:1], v[5:6]
	s_delay_alu instid0(VALU_DEP_1)
	s_and_saveexec_b32 s1, s0
	s_wait_alu 0xfffe
	s_xor_b32 s0, exec_lo, s1
	s_cbranch_execz .LBB0_11
; %bb.10:
	v_dual_mov_b32 v4, 0 :: v_dual_and_b32 v3, 15, v0
                                        ; implicit-def: $vgpr19_vgpr20
	s_delay_alu instid0(VALU_DEP_1)
	v_or_b32_e32 v7, 16, v3
	v_or_b32_e32 v17, 32, v3
	v_or_b32_e32 v15, 48, v3
	v_or_b32_e32 v13, 64, v3
	v_or_b32_e32 v11, 0x50, v3
	v_or_b32_e32 v9, 0x60, v3
	v_mov_b32_e32 v8, v4
	v_mov_b32_e32 v18, v4
	;; [unrolled: 1-line block ×6, first 2 shown]
.LBB0_11:
	s_wait_alu 0xfffe
	s_or_saveexec_b32 s1, s0
	v_mul_u32_u24_e32 v0, 0xe1, v21
	s_add_nc_u64 s[2:3], s[14:15], s[10:11]
	s_delay_alu instid0(VALU_DEP_1)
	v_lshlrev_b32_e32 v28, 2, v0
	s_wait_alu 0xfffe
	s_xor_b32 exec_lo, exec_lo, s1
	s_cbranch_execz .LBB0_13
; %bb.12:
	s_add_nc_u64 s[10:11], s[12:13], s[10:11]
	v_lshlrev_b64_e32 v[9:10], 2, v[19:20]
	s_load_b64 s[10:11], s[10:11], 0x0
	v_lshlrev_b32_e32 v12, 2, v3
	v_or_b32_e32 v17, 32, v3
	v_or_b32_e32 v15, 48, v3
	v_or_b32_e32 v13, 64, v3
	v_or_b32_e32 v11, 0x50, v3
	v_add3_u32 v33, 0, v28, v12
	s_wait_kmcnt 0x0
	v_mul_lo_u32 v0, s11, v5
	v_mul_lo_u32 v4, s10, v6
	v_mad_co_u64_u32 v[7:8], null, s10, v5, 0
	s_delay_alu instid0(VALU_DEP_1) | instskip(NEXT) | instid1(VALU_DEP_1)
	v_add3_u32 v8, v8, v4, v0
	v_lshlrev_b64_e32 v[7:8], 2, v[7:8]
	s_delay_alu instid0(VALU_DEP_1) | instskip(SKIP_1) | instid1(VALU_DEP_2)
	v_add_co_u32 v0, s0, s4, v7
	s_wait_alu 0xf1ff
	v_add_co_ci_u32_e64 v4, s0, s5, v8, s0
	s_delay_alu instid0(VALU_DEP_2) | instskip(SKIP_1) | instid1(VALU_DEP_2)
	v_add_co_u32 v0, s0, v0, v9
	s_wait_alu 0xf1ff
	v_add_co_ci_u32_e64 v4, s0, v4, v10, s0
	v_or_b32_e32 v9, 0x60, v3
	s_delay_alu instid0(VALU_DEP_3) | instskip(SKIP_1) | instid1(VALU_DEP_3)
	v_add_co_u32 v7, s0, v0, v12
	s_wait_alu 0xf1ff
	v_add_co_ci_u32_e64 v8, s0, 0, v4, s0
	v_mov_b32_e32 v4, 0
	s_clause 0xd
	global_load_b32 v0, v[7:8], off
	global_load_b32 v19, v[7:8], off offset:64
	global_load_b32 v20, v[7:8], off offset:128
	;; [unrolled: 1-line block ×13, first 2 shown]
	v_or_b32_e32 v7, 16, v3
	v_mov_b32_e32 v8, v4
	v_mov_b32_e32 v18, v4
	;; [unrolled: 1-line block ×6, first 2 shown]
	s_wait_loadcnt 0xc
	ds_store_2addr_b32 v33, v0, v19 offset1:16
	s_wait_loadcnt 0xa
	ds_store_2addr_b32 v33, v20, v21 offset0:32 offset1:48
	s_wait_loadcnt 0x8
	ds_store_2addr_b32 v33, v22, v23 offset0:64 offset1:80
	;; [unrolled: 2-line block ×6, first 2 shown]
.LBB0_13:
	s_or_b32 exec_lo, exec_lo, s1
	v_lshlrev_b32_e32 v26, 2, v3
	s_load_b64 s[2:3], s[2:3], 0x0
	global_wb scope:SCOPE_SE
	s_wait_dscnt 0x0
	s_wait_kmcnt 0x0
	s_barrier_signal -1
	s_barrier_wait -1
	v_add3_u32 v27, 0, v26, v28
	global_inv scope:SCOPE_SE
	v_add_nc_u32_e32 v0, 0, v28
	v_cmp_gt_u32_e64 s0, 14, v3
	ds_load_2addr_b32 v[19:20], v27 offset0:48 offset1:64
	ds_load_2addr_b32 v[21:22], v27 offset0:80 offset1:96
	;; [unrolled: 1-line block ×3, first 2 shown]
	ds_load_b32 v35, v27 offset:832
	ds_load_2addr_b32 v[29:30], v27 offset0:176 offset1:192
	ds_load_2addr_b32 v[31:32], v27 offset0:144 offset1:160
	ds_load_2addr_b32 v[33:34], v27 offset0:16 offset1:32
	v_mad_u32_u24 v37, v3, 24, v27
	v_add_nc_u32_e32 v25, v0, v26
	v_mad_i32_i24 v36, v7, 28, v0
	ds_load_b32 v38, v25
	global_wb scope:SCOPE_SE
	s_wait_dscnt 0x0
	s_barrier_signal -1
	s_barrier_wait -1
	global_inv scope:SCOPE_SE
	v_pk_add_f16 v44, v22, v24
	v_pk_add_f16 v22, v24, v22 neg_lo:[0,1] neg_hi:[0,1]
	v_pk_add_f16 v39, v19, v35
	v_pk_add_f16 v43, v20, v32
	;; [unrolled: 1-line block ×3, first 2 shown]
	v_pk_add_f16 v30, v34, v30 neg_lo:[0,1] neg_hi:[0,1]
	v_pk_add_f16 v20, v20, v32 neg_lo:[0,1] neg_hi:[0,1]
	v_pk_add_f16 v40, v21, v29
	v_pk_add_f16 v41, v23, v31
	;; [unrolled: 1-line block ×3, first 2 shown]
	v_pk_add_f16 v34, v43, v42 neg_lo:[0,1] neg_hi:[0,1]
	v_pk_add_f16 v42, v42, v44 neg_lo:[0,1] neg_hi:[0,1]
	v_pk_add_f16 v45, v22, v20
	v_pk_add_f16 v46, v30, v22 neg_lo:[0,1] neg_hi:[0,1]
	v_pk_add_f16 v47, v20, v30 neg_lo:[0,1] neg_hi:[0,1]
	;; [unrolled: 1-line block ×3, first 2 shown]
	v_pk_add_f16 v22, v44, v32
	v_pk_add_f16 v43, v44, v43 neg_lo:[0,1] neg_hi:[0,1]
	v_pk_mul_f16 v32, 0x3a52, v42 op_sel_hi:[0,1]
	v_pk_mul_f16 v34, 0x39e0, v34 op_sel_hi:[0,1]
	;; [unrolled: 1-line block ×3, first 2 shown]
	v_pk_add_f16 v38, v38, v22
	v_pk_mul_f16 v44, 0xb574, v46 op_sel_hi:[0,1]
	v_pk_add_f16 v30, v45, v30
	v_pk_add_f16 v45, v32, v34 op_sel:[1,1] op_sel_hi:[0,0] neg_lo:[1,1] neg_hi:[1,1]
	v_pk_fma_f16 v46, 0xb574, v46, v42 op_sel_hi:[0,1,1] neg_lo:[0,1,1] neg_hi:[0,1,1]
	v_pk_fma_f16 v22, 0x3cab, v22, v38 op_sel_hi:[0,1,1] neg_lo:[0,1,0] neg_hi:[0,1,0]
	v_pk_fma_f16 v42, 0x3846, v20, v42 op_sel_hi:[0,1,1] neg_lo:[0,1,0] neg_hi:[0,1,0]
	v_pk_fma_f16 v34, 0x2b26, v43, v34 op_sel_hi:[0,1,1] neg_lo:[0,1,0] neg_hi:[0,1,0]
	v_pk_fma_f16 v32, 0x2b26, v43, v32 op_sel_hi:[0,1,1]
	v_pk_fma_f16 v20, 0x3846, v20, v44 op_sel_hi:[0,1,1]
	v_pk_fma_f16 v46, 0xb70e, v30, v46 op_sel_hi:[0,1,1]
	v_pk_add_f16 v45, v45, v22 op_sel:[0,1] op_sel_hi:[1,0]
	v_pk_fma_f16 v42, 0xb70e, v30, v42 op_sel_hi:[0,1,1]
	v_pk_add_f16 v34, v34, v22
	v_pk_add_f16 v22, v32, v22
	v_pk_fma_f16 v20, 0xb70e, v30, v20 op_sel_hi:[0,1,1]
	v_pk_add_f16 v43, v45, v46
	v_pk_add_f16 v44, v45, v46 neg_lo:[0,1] neg_hi:[0,1]
	v_pk_add_f16 v45, v34, v42 op_sel:[0,1] op_sel_hi:[1,0] neg_lo:[0,1] neg_hi:[0,1]
	v_pk_add_f16 v34, v34, v42 op_sel:[0,1] op_sel_hi:[1,0]
	v_pk_add_f16 v42, v22, v20 op_sel:[0,1] op_sel_hi:[1,0]
	v_pk_add_f16 v20, v22, v20 op_sel:[0,1] op_sel_hi:[1,0] neg_lo:[0,1] neg_hi:[0,1]
	v_alignbit_b32 v30, v44, v43, 16
	v_pk_add_f16 v19, v19, v35 neg_lo:[0,1] neg_hi:[0,1]
	v_bfi_b32 v32, 0xffff, v45, v34
	v_bfi_b32 v34, 0xffff, v34, v45
	v_pk_add_f16 v21, v21, v29 neg_lo:[0,1] neg_hi:[0,1]
	v_pk_add_f16 v23, v31, v23 neg_lo:[0,1] neg_hi:[0,1]
	;; [unrolled: 1-line block ×4, first 2 shown]
	v_bfi_b32 v45, 0xffff, v42, v20
	v_alignbit_b32 v43, v43, v44, 16
	v_bfi_b32 v20, 0xffff, v20, v42
	v_pk_add_f16 v24, v40, v39
	v_pk_add_f16 v31, v21, v19 neg_lo:[0,1] neg_hi:[0,1]
	v_pk_add_f16 v35, v23, v21
	v_pk_mul_f16 v22, 0x3a52, v22 op_sel_hi:[0,1]
	v_pk_mul_f16 v29, 0x39e0, v29 op_sel_hi:[0,1]
	ds_store_2addr_b32 v37, v38, v45 offset1:1
	ds_store_2addr_b32 v37, v30, v32 offset0:2 offset1:3
	ds_store_2addr_b32 v37, v34, v43 offset0:4 offset1:5
	ds_store_b32 v37, v20 offset:24
	v_pk_add_f16 v32, v41, v40 neg_lo:[0,1] neg_hi:[0,1]
	v_and_b32_e32 v34, 0xff, v3
	v_pk_add_f16 v24, v41, v24
	v_pk_add_f16 v39, v19, v23 neg_lo:[0,1] neg_hi:[0,1]
	v_pk_mul_f16 v31, 0xbb00, v31 op_sel_hi:[0,1]
	v_pk_add_f16 v19, v35, v19
	v_pk_add_f16 v35, v22, v29 op_sel:[1,1] op_sel_hi:[0,0] neg_lo:[1,1] neg_hi:[1,1]
	v_and_b32_e32 v37, 0xff, v7
	v_pk_add_f16 v21, v23, v21 neg_lo:[0,1] neg_hi:[0,1]
	v_pk_fma_f16 v23, 0x2b26, v32, v29 op_sel_hi:[0,1,1] neg_lo:[0,1,0] neg_hi:[0,1,0]
	v_mul_lo_u16 v29, v34, 37
	v_pk_add_f16 v33, v33, v24
	v_pk_fma_f16 v46, 0xb574, v39, v31 op_sel_hi:[0,1,1] neg_lo:[0,1,1] neg_hi:[0,1,1]
	v_pk_mul_f16 v20, 0xb574, v39 op_sel_hi:[0,1]
	v_mul_lo_u16 v34, v37, 37
	v_pk_fma_f16 v31, 0x3846, v21, v31 op_sel_hi:[0,1,1] neg_lo:[0,1,0] neg_hi:[0,1,0]
	v_lshrrev_b16 v29, 8, v29
	v_pk_fma_f16 v24, 0x3cab, v24, v33 op_sel_hi:[0,1,1] neg_lo:[0,1,0] neg_hi:[0,1,0]
	v_pk_fma_f16 v22, 0x2b26, v32, v22 op_sel_hi:[0,1,1]
	v_lshrrev_b16 v34, 8, v34
	v_pk_fma_f16 v20, 0x3846, v21, v20 op_sel_hi:[0,1,1]
	v_pk_fma_f16 v21, 0xb70e, v19, v31 op_sel_hi:[0,1,1]
	v_sub_nc_u16 v31, v3, v29
	v_pk_add_f16 v35, v35, v24 op_sel:[0,1] op_sel_hi:[1,0]
	v_pk_fma_f16 v38, 0xb70e, v19, v46 op_sel_hi:[0,1,1]
	v_pk_add_f16 v23, v23, v24
	v_sub_nc_u16 v32, v7, v34
	v_pk_add_f16 v22, v22, v24
	v_pk_fma_f16 v19, 0xb70e, v19, v20 op_sel_hi:[0,1,1]
	v_lshrrev_b16 v24, 1, v31
	v_pk_add_f16 v20, v23, v21 op_sel:[0,1] op_sel_hi:[1,0] neg_lo:[0,1] neg_hi:[0,1]
	v_lshrrev_b16 v31, 1, v32
	v_pk_add_f16 v21, v23, v21 op_sel:[0,1] op_sel_hi:[1,0]
	v_pk_add_f16 v23, v22, v19 op_sel:[0,1] op_sel_hi:[1,0]
	v_pk_add_f16 v19, v22, v19 op_sel:[0,1] op_sel_hi:[1,0] neg_lo:[0,1] neg_hi:[0,1]
	v_and_b32_e32 v22, 0x7f, v24
	v_pk_add_f16 v30, v35, v38
	v_pk_add_f16 v35, v35, v38 neg_lo:[0,1] neg_hi:[0,1]
	v_and_b32_e32 v24, 0x7f, v31
	v_bfi_b32 v31, 0xffff, v20, v21
	v_bfi_b32 v20, 0xffff, v21, v20
	;; [unrolled: 1-line block ×3, first 2 shown]
	v_add_nc_u16 v22, v22, v29
	v_and_b32_e32 v39, 0xff, v11
	v_and_b32_e32 v40, 0xff, v9
	v_alignbit_b32 v38, v35, v30, 16
	v_and_b32_e32 v41, 0xff, v13
	v_alignbit_b32 v29, v30, v35, 16
	v_bfi_b32 v19, 0xffff, v19, v23
	ds_store_2addr_b32 v36, v33, v21 offset1:1
	v_lshrrev_b16 v23, 2, v22
	v_mul_lo_u16 v21, v39, 37
	v_mul_lo_u16 v22, v40, 37
	v_and_b32_e32 v42, 0xff, v15
	v_add_nc_u16 v24, v24, v34
	v_and_b32_e32 v34, 0xff, v17
	ds_store_2addr_b32 v36, v38, v31 offset0:2 offset1:3
	ds_store_2addr_b32 v36, v20, v29 offset0:4 offset1:5
	ds_store_b32 v36, v19 offset:24
	v_mul_lo_u16 v29, v41, 37
	v_lshrrev_b16 v21, 8, v21
	v_lshrrev_b16 v22, 8, v22
	v_mul_lo_u16 v30, v42, 37
	v_mul_lo_u16 v31, v34, 37
	v_lshrrev_b16 v29, 8, v29
	v_sub_nc_u16 v32, v11, v21
	v_sub_nc_u16 v33, v9, v22
	v_lshrrev_b16 v30, 8, v30
	v_lshrrev_b16 v31, 8, v31
	v_sub_nc_u16 v35, v13, v29
	v_lshrrev_b16 v32, 1, v32
	v_lshrrev_b16 v33, 1, v33
	v_sub_nc_u16 v38, v15, v30
	v_sub_nc_u16 v43, v17, v31
	v_lshrrev_b16 v35, 1, v35
	v_and_b32_e32 v32, 0x7f, v32
	v_and_b32_e32 v33, 0x7f, v33
	v_lshrrev_b16 v38, 1, v38
	v_lshrrev_b16 v43, 1, v43
	v_and_b32_e32 v35, 0x7f, v35
	v_add_nc_u16 v21, v32, v21
	v_add_nc_u16 v22, v33, v22
	v_and_b32_e32 v32, 0x7f, v38
	v_and_b32_e32 v33, 0x7f, v43
	v_add_nc_u16 v29, v35, v29
	v_lshrrev_b16 v35, 2, v21
	v_lshrrev_b16 v38, 2, v22
	v_add_nc_u16 v21, v32, v30
	v_add_nc_u16 v22, v33, v31
	v_lshrrev_b16 v43, 2, v29
	v_mul_lo_u16 v29, v35, 7
	v_mul_lo_u16 v30, v38, 7
	v_lshrrev_b16 v44, 2, v21
	v_lshrrev_b16 v45, 2, v22
	;; [unrolled: 1-line block ×3, first 2 shown]
	v_mul_lo_u16 v21, v43, 7
	v_sub_nc_u16 v22, v11, v29
	v_sub_nc_u16 v29, v9, v30
	v_mul_lo_u16 v30, v44, 7
	v_mul_lo_u16 v31, v45, 7
	;; [unrolled: 1-line block ×4, first 2 shown]
	v_sub_nc_u16 v21, v13, v21
	v_and_b32_e32 v22, 0xff, v22
	v_sub_nc_u16 v30, v15, v30
	v_and_b32_e32 v29, 0xff, v29
	v_sub_nc_u16 v31, v17, v31
	v_sub_nc_u16 v20, v7, v20
	;; [unrolled: 1-line block ×3, first 2 shown]
	v_and_b32_e32 v21, 0xff, v21
	v_lshlrev_b32_e32 v46, 2, v22
	v_and_b32_e32 v22, 0xff, v30
	v_lshlrev_b32_e32 v47, 2, v29
	v_and_b32_e32 v29, 0xff, v31
	v_and_b32_e32 v20, 0xff, v20
	;; [unrolled: 1-line block ×3, first 2 shown]
	v_lshlrev_b32_e32 v48, 2, v21
	v_lshlrev_b32_e32 v51, 2, v22
	;; [unrolled: 1-line block ×3, first 2 shown]
	v_dual_mov_b32 v20, 0 :: v_dual_lshlrev_b32 v53, 2, v20
	v_lshlrev_b32_e32 v54, 2, v19
	global_wb scope:SCOPE_SE
	s_wait_dscnt 0x0
	s_barrier_signal -1
	s_barrier_wait -1
	global_inv scope:SCOPE_SE
	s_clause 0x6
	global_load_b32 v49, v46, s[8:9]
	global_load_b32 v50, v47, s[8:9]
	global_load_b32 v55, v48, s[8:9]
	global_load_b32 v56, v51, s[8:9]
	global_load_b32 v57, v52, s[8:9]
	global_load_b32 v58, v53, s[8:9]
	global_load_b32 v59, v54, s[8:9]
	v_lshrrev_b16 v37, 1, v37
	v_lshrrev_b16 v60, 1, v34
	;; [unrolled: 1-line block ×6, first 2 shown]
	v_mad_i32_i24 v34, 0xffffffe8, v7, v36
	v_mul_lo_u16 v36, 0x93, v37
	v_mul_lo_u16 v37, 0x93, v60
	;; [unrolled: 1-line block ×6, first 2 shown]
	v_lshrrev_b16 v64, 10, v36
	v_lshrrev_b16 v65, 10, v37
	v_and_b32_e32 v23, 0xffff, v23
	v_and_b32_e32 v24, 0xffff, v24
	v_lshl_add_u32 v33, v17, 2, v0
	v_mul_lo_u16 v36, v64, 14
	v_mul_lo_u16 v37, v65, 14
	v_lshl_add_u32 v32, v15, 2, v0
	v_lshl_add_u32 v31, v13, 2, v0
	;; [unrolled: 1-line block ×3, first 2 shown]
	v_sub_nc_u16 v36, v7, v36
	v_sub_nc_u16 v37, v17, v37
	v_lshl_add_u32 v29, v9, 2, v0
	v_mad_u32_u24 v72, v23, 56, 0
	v_mad_u32_u24 v73, v24, 56, 0
	v_and_b32_e32 v36, 0xff, v36
	v_and_b32_e32 v37, 0xff, v37
	ds_load_b32 v74, v25
	ds_load_b32 v75, v33
	;; [unrolled: 1-line block ×7, first 2 shown]
	ds_load_b32 v81, v27 offset:832
	ds_load_2addr_b32 v[23:24], v27 offset0:176 offset1:192
	v_and_b32_e32 v43, 0xffff, v43
	v_lshrrev_b16 v61, 10, v61
	v_lshlrev_b32_e32 v70, 2, v36
	v_lshlrev_b32_e32 v71, 2, v37
	v_and_b32_e32 v36, 0xffff, v45
	v_and_b32_e32 v37, 0xffff, v44
	;; [unrolled: 1-line block ×4, first 2 shown]
	v_mad_u32_u24 v43, v43, 56, 0
	v_mad_u32_u24 v82, v36, 56, 0
	ds_load_2addr_b32 v[35:36], v27 offset0:144 offset1:160
	v_mad_u32_u24 v83, v37, 56, 0
	ds_load_2addr_b32 v[37:38], v27 offset0:112 offset1:128
	v_mad_u32_u24 v44, v44, 56, 0
	v_mad_u32_u24 v45, v45, 56, 0
	v_lshrrev_b16 v62, 10, v62
	v_add3_u32 v54, v72, v54, v28
	v_add3_u32 v51, v83, v51, v28
	;; [unrolled: 1-line block ×5, first 2 shown]
	v_lshrrev_b16 v60, 10, v60
	v_lshrrev_b16 v63, 10, v63
	v_add3_u32 v52, v82, v52, v28
	v_add3_u32 v53, v73, v53, v28
	v_mul_lo_u16 v67, v62, 14
	v_mul_lo_u16 v69, v61, 14
	v_add_nc_u32_e32 v19, -14, v3
	v_mul_lo_u16 v66, v60, 14
	v_mul_lo_u16 v68, v63, 14
	v_sub_nc_u16 v67, v11, v67
	v_sub_nc_u16 v69, v13, v69
	s_wait_alu 0xf1ff
	v_cndmask_b32_e64 v19, v19, v3, s0
	v_sub_nc_u16 v66, v15, v66
	v_sub_nc_u16 v68, v9, v68
	v_and_b32_e32 v67, 0xff, v67
	v_and_b32_e32 v69, 0xff, v69
	v_lshlrev_b64_e32 v[21:22], 2, v[19:20]
	v_and_b32_e32 v66, 0xff, v66
	v_and_b32_e32 v68, 0xff, v68
	v_lshlrev_b32_e32 v67, 2, v67
	v_lshlrev_b32_e32 v69, 2, v69
	global_wb scope:SCOPE_SE
	s_wait_loadcnt_dscnt 0x0
	v_lshlrev_b32_e32 v66, 2, v66
	v_lshlrev_b32_e32 v68, 2, v68
	v_add_co_u32 v21, s0, s8, v21
	s_wait_alu 0xf1ff
	v_add_co_ci_u32_e64 v22, s0, s9, v22, s0
	s_barrier_signal -1
	s_barrier_wait -1
	global_inv scope:SCOPE_SE
	v_cmp_lt_u32_e64 s0, 13, v3
	v_lshlrev_b64_e32 v[17:18], 2, v[17:18]
	v_pk_mul_f16 v48, v23, v55 op_sel:[0,1]
	v_pk_mul_f16 v72, v56, v36 op_sel:[0,1]
	;; [unrolled: 1-line block ×7, first 2 shown]
	s_delay_alu instid0(VALU_DEP_4)
	v_pk_fma_f16 v84, v81, v50, v46 op_sel:[0,0,1] op_sel_hi:[1,1,0]
	v_pk_fma_f16 v46, v81, v50, v46 op_sel:[0,0,1] op_sel_hi:[1,0,0] neg_lo:[0,0,1] neg_hi:[0,0,1]
	v_pk_fma_f16 v50, v24, v49, v47 op_sel:[0,0,1] op_sel_hi:[1,1,0]
	v_pk_fma_f16 v24, v24, v49, v47 op_sel:[0,0,1] op_sel_hi:[1,0,0] neg_lo:[0,0,1] neg_hi:[0,0,1]
	v_pk_fma_f16 v47, v23, v55, v48 op_sel:[0,0,1] op_sel_hi:[1,1,0]
	v_pk_fma_f16 v23, v23, v55, v48 op_sel:[0,0,1] op_sel_hi:[1,0,0] neg_lo:[0,0,1] neg_hi:[0,0,1]
	v_pk_fma_f16 v48, v56, v36, v72 op_sel:[0,0,1] op_sel_hi:[1,1,0]
	v_pk_fma_f16 v36, v56, v36, v72 op_sel:[0,0,1] op_sel_hi:[1,0,0] neg_lo:[1,0,0] neg_hi:[1,0,0]
	v_pk_fma_f16 v56, v59, v37, v83 op_sel:[0,0,1] op_sel_hi:[1,1,0]
	v_pk_fma_f16 v37, v59, v37, v83 op_sel:[0,0,1] op_sel_hi:[1,0,0] neg_lo:[1,0,0] neg_hi:[1,0,0]
	v_pk_fma_f16 v55, v58, v38, v82 op_sel:[0,0,1] op_sel_hi:[1,1,0]
	v_pk_fma_f16 v38, v58, v38, v82 op_sel:[0,0,1] op_sel_hi:[1,0,0] neg_lo:[1,0,0] neg_hi:[1,0,0]
	v_pk_fma_f16 v49, v57, v35, v73 op_sel:[0,0,1] op_sel_hi:[1,1,0]
	v_pk_fma_f16 v35, v57, v35, v73 op_sel:[0,0,1] op_sel_hi:[1,0,0] neg_lo:[1,0,0] neg_hi:[1,0,0]
	v_bfi_b32 v37, 0xffff, v56, v37
	v_bfi_b32 v36, 0xffff, v48, v36
	;; [unrolled: 1-line block ×7, first 2 shown]
	v_pk_add_f16 v37, v74, v37 neg_lo:[0,1] neg_hi:[0,1]
	v_pk_add_f16 v38, v80, v38 neg_lo:[0,1] neg_hi:[0,1]
	v_pk_add_f16 v35, v75, v35 neg_lo:[0,1] neg_hi:[0,1]
	v_pk_add_f16 v36, v76, v36 neg_lo:[0,1] neg_hi:[0,1]
	v_pk_add_f16 v46, v79, v46 neg_lo:[0,1] neg_hi:[0,1]
	v_pk_add_f16 v24, v78, v24 neg_lo:[0,1] neg_hi:[0,1]
	v_pk_add_f16 v23, v77, v23 neg_lo:[0,1] neg_hi:[0,1]
	v_pk_fma_f16 v49, v74, 2.0, v37 op_sel_hi:[1,0,1] neg_lo:[0,0,1] neg_hi:[0,0,1]
	v_pk_fma_f16 v50, v80, 2.0, v38 op_sel_hi:[1,0,1] neg_lo:[0,0,1] neg_hi:[0,0,1]
	;; [unrolled: 1-line block ×7, first 2 shown]
	ds_store_2addr_b32 v54, v49, v37 offset1:7
	ds_store_2addr_b32 v53, v50, v38 offset1:7
	;; [unrolled: 1-line block ×7, first 2 shown]
	global_wb scope:SCOPE_SE
	s_wait_dscnt 0x0
	s_barrier_signal -1
	s_barrier_wait -1
	global_inv scope:SCOPE_SE
	s_clause 0x6
	global_load_b32 v43, v67, s[8:9] offset:28
	global_load_b32 v44, v68, s[8:9] offset:28
	;; [unrolled: 1-line block ×6, first 2 shown]
	global_load_b32 v49, v[21:22], off offset:28
	v_lshlrev_b64_e32 v[21:22], 2, v[3:4]
	s_wait_alu 0xf1ff
	v_cndmask_b32_e64 v23, 0, 0x70, s0
	v_add_nc_u32_e32 v4, -12, v3
	v_lshrrev_b16 v24, 2, v42
	v_lshrrev_b16 v35, 2, v41
	;; [unrolled: 1-line block ×3, first 2 shown]
	v_add_co_u32 v21, s0, s8, v21
	s_wait_alu 0xf1ff
	v_add_co_ci_u32_e64 v22, s0, s9, v22, s0
	v_lshrrev_b16 v37, 2, v40
	v_cmp_gt_u32_e64 s0, 28, v7
	v_lshlrev_b32_e32 v38, 2, v19
	v_mul_lo_u16 v35, v35, 37
	v_mul_lo_u16 v36, v36, 37
	;; [unrolled: 1-line block ×3, first 2 shown]
	s_wait_alu 0xf1ff
	v_cndmask_b32_e64 v19, v4, v7, s0
	v_mul_lo_u16 v4, v24, 37
	v_add_nc_u32_e32 v23, 0, v23
	v_lshrrev_b16 v35, 8, v35
	v_lshrrev_b16 v42, 8, v36
	;; [unrolled: 1-line block ×4, first 2 shown]
	v_add3_u32 v41, v23, v38, v28
	v_and_b32_e32 v37, 0xffff, v64
	v_and_b32_e32 v38, 0xffff, v65
	;; [unrolled: 1-line block ×4, first 2 shown]
	v_mul_lo_u16 v52, v4, 28
	v_mul_lo_u16 v35, v35, 28
	v_mul_lo_u16 v53, v42, 28
	v_mul_lo_u16 v36, v36, 28
	v_mad_u32_u24 v54, 0x70, v37, 0
	v_mad_u32_u24 v55, 0x70, v38, 0
	;; [unrolled: 1-line block ×4, first 2 shown]
	v_sub_nc_u16 v37, v15, v52
	v_sub_nc_u16 v38, v11, v53
	;; [unrolled: 1-line block ×4, first 2 shown]
	v_and_b32_e32 v50, 0xffff, v62
	v_and_b32_e32 v51, 0xffff, v63
	;; [unrolled: 1-line block ×4, first 2 shown]
	ds_load_b32 v58, v25
	ds_load_b32 v59, v33
	;; [unrolled: 1-line block ×7, first 2 shown]
	ds_load_b32 v65, v27 offset:832
	ds_load_2addr_b32 v[35:36], v27 offset0:176 offset1:192
	v_and_b32_e32 v72, 0xff, v40
	ds_load_2addr_b32 v[37:38], v27 offset0:144 offset1:160
	v_and_b32_e32 v73, 0xff, v39
	ds_load_2addr_b32 v[39:40], v27 offset0:112 offset1:128
	v_mad_u32_u24 v50, 0x70, v50, 0
	v_mad_u32_u24 v51, 0x70, v51, 0
	v_add3_u32 v54, v54, v70, v28
	v_add3_u32 v55, v55, v71, v28
	;; [unrolled: 1-line block ×6, first 2 shown]
	v_lshlrev_b64_e32 v[23:24], 2, v[19:20]
	v_lshlrev_b32_e32 v72, 2, v72
	v_lshlrev_b32_e32 v53, 2, v53
	;; [unrolled: 1-line block ×4, first 2 shown]
	global_wb scope:SCOPE_SE
	s_wait_loadcnt_dscnt 0x0
	v_add_co_u32 v23, s0, s8, v23
	s_wait_alu 0xf1ff
	v_add_co_ci_u32_e64 v24, s0, s9, v24, s0
	s_barrier_signal -1
	s_barrier_wait -1
	global_inv scope:SCOPE_SE
	v_cmp_lt_u32_e64 s0, 27, v7
	v_and_b32_e32 v4, 0xffff, v4
	s_delay_alu instid0(VALU_DEP_1) | instskip(NEXT) | instid1(VALU_DEP_1)
	v_mad_u32_u24 v4, 0xe0, v4, 0
	v_add3_u32 v4, v4, v52, v28
	v_pk_mul_f16 v68, v45, v35 op_sel:[0,1]
	v_pk_mul_f16 v69, v46, v38 op_sel:[0,1]
	;; [unrolled: 1-line block ×7, first 2 shown]
	s_delay_alu instid0(VALU_DEP_4)
	v_pk_fma_f16 v75, v65, v44, v66 op_sel:[0,0,1] op_sel_hi:[1,1,0]
	v_pk_fma_f16 v44, v65, v44, v66 op_sel:[0,0,1] op_sel_hi:[1,0,0] neg_lo:[0,0,1] neg_hi:[0,0,1]
	v_pk_fma_f16 v65, v36, v43, v67 op_sel:[0,0,1] op_sel_hi:[1,1,0]
	v_pk_fma_f16 v36, v36, v43, v67 op_sel:[0,0,1] op_sel_hi:[1,0,0] neg_lo:[0,0,1] neg_hi:[0,0,1]
	v_pk_fma_f16 v43, v45, v35, v68 op_sel:[0,0,1] op_sel_hi:[1,1,0]
	v_pk_fma_f16 v35, v45, v35, v68 op_sel:[0,0,1] op_sel_hi:[1,0,0] neg_lo:[1,0,0] neg_hi:[1,0,0]
	v_pk_fma_f16 v45, v46, v38, v69 op_sel:[0,0,1] op_sel_hi:[1,1,0]
	v_pk_fma_f16 v38, v46, v38, v69 op_sel:[0,0,1] op_sel_hi:[1,0,0] neg_lo:[1,0,0] neg_hi:[1,0,0]
	v_pk_fma_f16 v46, v47, v37, v70 op_sel:[0,0,1] op_sel_hi:[1,1,0]
	v_pk_fma_f16 v37, v47, v37, v70 op_sel:[0,0,1] op_sel_hi:[1,0,0] neg_lo:[1,0,0] neg_hi:[1,0,0]
	v_pk_fma_f16 v47, v48, v40, v71 op_sel:[0,0,1] op_sel_hi:[1,1,0]
	v_pk_fma_f16 v40, v48, v40, v71 op_sel:[0,0,1] op_sel_hi:[1,0,0] neg_lo:[1,0,0] neg_hi:[1,0,0]
	v_pk_fma_f16 v48, v49, v39, v74 op_sel:[0,0,1] op_sel_hi:[1,1,0]
	v_pk_fma_f16 v39, v49, v39, v74 op_sel:[0,0,1] op_sel_hi:[1,0,0] neg_lo:[1,0,0] neg_hi:[1,0,0]
	v_bfi_b32 v37, 0xffff, v46, v37
	v_bfi_b32 v38, 0xffff, v45, v38
	;; [unrolled: 1-line block ×7, first 2 shown]
	v_pk_add_f16 v40, v64, v40 neg_lo:[0,1] neg_hi:[0,1]
	v_pk_add_f16 v37, v59, v37 neg_lo:[0,1] neg_hi:[0,1]
	;; [unrolled: 1-line block ×7, first 2 shown]
	v_pk_fma_f16 v46, v58, 2.0, v39 op_sel_hi:[1,0,1] neg_lo:[0,0,1] neg_hi:[0,0,1]
	v_pk_fma_f16 v47, v64, 2.0, v40 op_sel_hi:[1,0,1] neg_lo:[0,0,1] neg_hi:[0,0,1]
	;; [unrolled: 1-line block ×7, first 2 shown]
	ds_store_2addr_b32 v41, v46, v39 offset1:14
	ds_store_2addr_b32 v54, v47, v40 offset1:14
	ds_store_2addr_b32 v55, v48, v37 offset1:14
	ds_store_2addr_b32 v56, v49, v38 offset1:14
	ds_store_2addr_b32 v57, v58, v35 offset1:14
	ds_store_2addr_b32 v50, v45, v36 offset1:14
	ds_store_2addr_b32 v51, v44, v43 offset1:14
	global_wb scope:SCOPE_SE
	s_wait_dscnt 0x0
	s_barrier_signal -1
	s_barrier_wait -1
	global_inv scope:SCOPE_SE
	s_clause 0x6
	global_load_b32 v43, v[21:22], off offset:84
	global_load_b32 v44, v[21:22], off offset:100
	global_load_b32 v45, v72, s[8:9] offset:84
	global_load_b32 v46, v53, s[8:9] offset:84
	;; [unrolled: 1-line block ×4, first 2 shown]
	global_load_b32 v49, v[23:24], off offset:84
	v_lshlrev_b64_e32 v[23:24], 2, v[7:8]
	s_wait_alu 0xf1ff
	v_cndmask_b32_e64 v35, 0, 0xe0, s0
	v_add_nc_u32_e32 v8, -8, v3
	v_lshlrev_b32_e32 v51, 2, v19
	v_add_nc_u32_e32 v52, v0, v72
	v_add_co_u32 v23, s0, s8, v23
	s_wait_alu 0xf1ff
	v_add_co_ci_u32_e64 v24, s0, s9, v24, s0
	v_cmp_gt_u32_e64 s0, 56, v15
	v_add_nc_u32_e32 v50, 0, v35
	s_wait_alu 0xf1ff
	s_delay_alu instid0(VALU_DEP_2)
	v_cndmask_b32_e64 v19, v8, v15, s0
	v_and_b32_e32 v8, 0xffff, v42
	v_add_co_u32 v17, s0, s8, v17
	s_wait_alu 0xf1ff
	v_add_co_ci_u32_e64 v18, s0, s9, v18, s0
	v_lshlrev_b64_e32 v[35:36], 2, v[19:20]
	ds_load_2addr_b32 v[37:38], v27 offset0:112 offset1:128
	ds_load_2addr_b32 v[39:40], v27 offset0:144 offset1:160
	ds_load_b32 v20, v33
	ds_load_b32 v54, v32
	;; [unrolled: 1-line block ×6, first 2 shown]
	ds_load_b32 v59, v27 offset:832
	ds_load_2addr_b32 v[41:42], v27 offset0:176 offset1:192
	v_mad_u32_u24 v8, 0xe0, v8, 0
	v_add3_u32 v50, v50, v51, v28
	v_add_nc_u32_e32 v51, v0, v73
	v_lshlrev_b32_e32 v19, 2, v19
	v_add_co_u32 v35, s0, s8, v35
	v_add3_u32 v8, v8, v53, v28
	ds_load_b32 v53, v25
	s_wait_alu 0xf1ff
	v_add_co_ci_u32_e64 v36, s0, s9, v36, s0
	global_wb scope:SCOPE_SE
	s_wait_loadcnt_dscnt 0x0
	s_barrier_signal -1
	s_barrier_wait -1
	global_inv scope:SCOPE_SE
	v_cmp_lt_u32_e64 s0, 55, v15
	v_lshlrev_b64_e32 v[15:16], 2, v[15:16]
	v_pk_mul_f16 v60, v43, v37 op_sel:[0,1]
	v_pk_mul_f16 v61, v44, v39 op_sel:[0,1]
	;; [unrolled: 1-line block ×7, first 2 shown]
	v_pk_fma_f16 v67, v43, v37, v60 op_sel:[0,0,1] op_sel_hi:[1,1,0]
	v_pk_fma_f16 v37, v43, v37, v60 op_sel:[0,0,1] op_sel_hi:[1,0,0] neg_lo:[1,0,0] neg_hi:[1,0,0]
	v_pk_fma_f16 v43, v44, v39, v61 op_sel:[0,0,1] op_sel_hi:[1,1,0]
	v_pk_fma_f16 v39, v44, v39, v61 op_sel:[0,0,1] op_sel_hi:[1,0,0] neg_lo:[1,0,0] neg_hi:[1,0,0]
	;; [unrolled: 2-line block ×7, first 2 shown]
	v_bfi_b32 v37, 0xffff, v67, v37
	v_bfi_b32 v39, 0xffff, v43, v39
	;; [unrolled: 1-line block ×7, first 2 shown]
	v_pk_add_f16 v37, v53, v37 neg_lo:[0,1] neg_hi:[0,1]
	v_pk_add_f16 v39, v20, v39 neg_lo:[0,1] neg_hi:[0,1]
	;; [unrolled: 1-line block ×7, first 2 shown]
	v_pk_fma_f16 v44, v53, 2.0, v37 op_sel_hi:[1,0,1] neg_lo:[0,0,1] neg_hi:[0,0,1]
	v_pk_fma_f16 v46, v58, 2.0, v38 op_sel_hi:[1,0,1] neg_lo:[0,0,1] neg_hi:[0,0,1]
	;; [unrolled: 1-line block ×7, first 2 shown]
	ds_store_2addr_b32 v27, v44, v37 offset1:28
	ds_store_2addr_b32 v50, v46, v38 offset1:28
	ds_store_2addr_b32 v27, v20, v39 offset0:60 offset1:88
	ds_store_2addr_b32 v4, v48, v40 offset1:28
	ds_store_2addr_b32 v51, v49, v41 offset0:112 offset1:140
	;; [unrolled: 2-line block ×3, first 2 shown]
	global_wb scope:SCOPE_SE
	s_wait_dscnt 0x0
	s_barrier_signal -1
	s_barrier_wait -1
	global_inv scope:SCOPE_SE
	s_clause 0x6
	global_load_b32 v4, v[21:22], off offset:356
	global_load_b32 v20, v[17:18], off offset:196
	;; [unrolled: 1-line block ×7, first 2 shown]
	v_lshlrev_b64_e32 v[35:36], 2, v[13:14]
	s_wait_alu 0xf1ff
	v_cndmask_b32_e64 v39, 0, 0x1c0, s0
	v_add_co_u32 v14, s0, s8, v15
	s_wait_alu 0xf1ff
	v_add_co_ci_u32_e64 v15, s0, s9, v16, s0
	v_lshlrev_b64_e32 v[37:38], 2, v[11:12]
	v_add_co_u32 v12, s0, s8, v35
	v_add_nc_u32_e32 v48, 0, v39
	s_wait_alu 0xf1ff
	v_add_co_ci_u32_e64 v13, s0, s9, v36, s0
	ds_load_2addr_b32 v[35:36], v27 offset0:112 offset1:128
	ds_load_2addr_b32 v[39:40], v27 offset0:144 offset1:160
	ds_load_2addr_b32 v[41:42], v27 offset0:176 offset1:192
	ds_load_b32 v16, v33
	ds_load_b32 v49, v32
	;; [unrolled: 1-line block ×6, first 2 shown]
	ds_load_b32 v54, v27 offset:832
	v_lshlrev_b64_e32 v[8:9], 2, v[9:10]
	v_add3_u32 v19, v48, v19, v28
	ds_load_b32 v28, v25
	v_add_co_u32 v10, s0, s8, v37
	s_wait_alu 0xf1ff
	v_add_co_ci_u32_e64 v11, s0, s9, v38, s0
	v_add_co_u32 v8, s0, s8, v8
	s_wait_alu 0xf1ff
	v_add_co_ci_u32_e64 v9, s0, s9, v9, s0
	global_wb scope:SCOPE_SE
	s_wait_loadcnt_dscnt 0x0
	s_barrier_signal -1
	s_barrier_wait -1
	global_inv scope:SCOPE_SE
	v_cmp_ne_u32_e64 s0, 0, v3
	v_pk_mul_f16 v57, v54, v4 op_sel:[0,1]
	v_pk_mul_f16 v37, v20, v39 op_sel:[0,1]
	;; [unrolled: 1-line block ×7, first 2 shown]
	v_pk_fma_f16 v59, v20, v39, v37 op_sel:[0,0,1] op_sel_hi:[1,1,0]
	v_pk_fma_f16 v20, v20, v39, v37 op_sel:[0,0,1] op_sel_hi:[1,0,0] neg_lo:[1,0,0] neg_hi:[1,0,0]
	v_pk_fma_f16 v37, v43, v36, v38 op_sel:[0,0,1] op_sel_hi:[1,1,0]
	v_pk_fma_f16 v36, v43, v36, v38 op_sel:[0,0,1] op_sel_hi:[1,0,0] neg_lo:[1,0,0] neg_hi:[1,0,0]
	;; [unrolled: 2-line block ×7, first 2 shown]
	v_bfi_b32 v35, 0xffff, v38, v35
	v_bfi_b32 v36, 0xffff, v37, v36
	;; [unrolled: 1-line block ×7, first 2 shown]
	v_pk_add_f16 v35, v28, v35 neg_lo:[0,1] neg_hi:[0,1]
	v_pk_add_f16 v36, v53, v36 neg_lo:[0,1] neg_hi:[0,1]
	;; [unrolled: 1-line block ×7, first 2 shown]
	v_pk_fma_f16 v28, v28, 2.0, v35 op_sel_hi:[1,0,1] neg_lo:[0,0,1] neg_hi:[0,0,1]
	v_pk_fma_f16 v42, v53, 2.0, v36 op_sel_hi:[1,0,1] neg_lo:[0,0,1] neg_hi:[0,0,1]
	;; [unrolled: 1-line block ×7, first 2 shown]
	ds_store_2addr_b32 v27, v28, v35 offset1:56
	ds_store_2addr_b32 v34, v42, v36 offset1:56
	;; [unrolled: 1-line block ×4, first 2 shown]
	ds_store_2addr_b32 v27, v40, v41 offset0:120 offset1:136
	ds_store_2addr_b32 v27, v44, v37 offset0:152 offset1:176
	;; [unrolled: 1-line block ×3, first 2 shown]
	global_wb scope:SCOPE_SE
	s_wait_dscnt 0x0
	s_barrier_signal -1
	s_barrier_wait -1
	global_inv scope:SCOPE_SE
	s_clause 0x6
	global_load_b32 v4, v[14:15], off offset:420
	global_load_b32 v16, v[17:18], off offset:420
	;; [unrolled: 1-line block ×7, first 2 shown]
	ds_load_2addr_b32 v[19:20], v27 offset0:112 offset1:128
	ds_load_2addr_b32 v[35:36], v27 offset0:144 offset1:160
	ds_load_b32 v43, v33
	ds_load_b32 v44, v32
	ds_load_b32 v45, v31
	ds_load_b32 v46, v30
	ds_load_b32 v47, v29
	ds_load_b32 v48, v27 offset:832
	ds_load_2addr_b32 v[37:38], v27 offset0:176 offset1:192
	ds_load_b32 v49, v34
	ds_load_b32 v50, v25
	global_wb scope:SCOPE_SE
	s_wait_loadcnt_dscnt 0x0
	s_barrier_signal -1
	s_barrier_wait -1
	global_inv scope:SCOPE_SE
	v_pk_mul_f16 v57, v4, v36 op_sel:[0,1]
	v_pk_mul_f16 v51, v16, v35 op_sel:[0,1]
	;; [unrolled: 1-line block ×7, first 2 shown]
	v_pk_fma_f16 v58, v16, v35, v51 op_sel:[0,0,1] op_sel_hi:[1,1,0]
	v_pk_fma_f16 v16, v16, v35, v51 op_sel:[0,0,1] op_sel_hi:[1,0,0] neg_lo:[1,0,0] neg_hi:[1,0,0]
	v_pk_fma_f16 v35, v28, v20, v52 op_sel:[0,0,1] op_sel_hi:[1,1,0]
	v_pk_fma_f16 v20, v28, v20, v52 op_sel:[0,0,1] op_sel_hi:[1,0,0] neg_lo:[1,0,0] neg_hi:[1,0,0]
	;; [unrolled: 2-line block ×7, first 2 shown]
	v_bfi_b32 v19, 0xffff, v28, v19
	v_bfi_b32 v20, 0xffff, v35, v20
	;; [unrolled: 1-line block ×7, first 2 shown]
	v_pk_add_f16 v19, v50, v19 neg_lo:[0,1] neg_hi:[0,1]
	v_pk_add_f16 v20, v49, v20 neg_lo:[0,1] neg_hi:[0,1]
	v_pk_add_f16 v16, v43, v16 neg_lo:[0,1] neg_hi:[0,1]
	v_pk_add_f16 v4, v44, v4 neg_lo:[0,1] neg_hi:[0,1]
	v_pk_add_f16 v36, v45, v36 neg_lo:[0,1] neg_hi:[0,1]
	v_pk_add_f16 v28, v47, v28 neg_lo:[0,1] neg_hi:[0,1]
	v_pk_add_f16 v35, v46, v35 neg_lo:[0,1] neg_hi:[0,1]
	v_pk_fma_f16 v39, v50, 2.0, v19 op_sel_hi:[1,0,1] neg_lo:[0,0,1] neg_hi:[0,0,1]
	v_pk_fma_f16 v38, v49, 2.0, v20 op_sel_hi:[1,0,1] neg_lo:[0,0,1] neg_hi:[0,0,1]
	;; [unrolled: 1-line block ×7, first 2 shown]
	ds_store_2addr_b32 v27, v39, v19 offset1:112
	ds_store_2addr_b32 v34, v38, v20 offset1:112
	;; [unrolled: 1-line block ×7, first 2 shown]
	global_wb scope:SCOPE_SE
	s_wait_dscnt 0x0
	s_barrier_signal -1
	s_barrier_wait -1
	global_inv scope:SCOPE_SE
	ds_load_b32 v27, v25
	v_sub_nc_u32_e32 v4, v0, v26
                                        ; implicit-def: $vgpr19
                                        ; implicit-def: $vgpr16
                                        ; implicit-def: $vgpr20
	s_and_saveexec_b32 s1, s0
	s_wait_alu 0xfffe
	s_xor_b32 s0, exec_lo, s1
	s_cbranch_execz .LBB0_15
; %bb.14:
	global_load_b32 v16, v[21:22], off offset:868
	ds_load_b32 v19, v4 offset:896
	s_wait_dscnt 0x0
	v_pk_add_f16 v20, v27, v19 neg_lo:[0,1] neg_hi:[0,1]
	v_pk_add_f16 v19, v19, v27
	s_delay_alu instid0(VALU_DEP_1) | instskip(SKIP_1) | instid1(VALU_DEP_2)
	v_bfi_b32 v21, 0xffff, v20, v19
	v_bfi_b32 v19, 0xffff, v19, v20
	v_pk_mul_f16 v21, v21, 0.5 op_sel_hi:[1,0]
	s_delay_alu instid0(VALU_DEP_2) | instskip(SKIP_1) | instid1(VALU_DEP_2)
	v_pk_mul_f16 v22, v19, 0.5 op_sel_hi:[1,0]
	s_wait_loadcnt 0x0
	v_pk_mul_f16 v20, v16, v21 op_sel:[1,0]
	v_pk_mul_f16 v21, v16, v21 op_sel_hi:[0,1]
	s_delay_alu instid0(VALU_DEP_2)
	v_pk_fma_f16 v16, v19, 0.5, v20 op_sel_hi:[1,0,1]
	v_lshrrev_b32_e32 v19, 16, v22
	v_lshrrev_b32_e32 v26, 16, v20
	v_sub_f16_e32 v20, v22, v20
	v_lshrrev_b32_e32 v22, 16, v21
	v_pk_add_f16 v27, v16, v21 op_sel:[0,1] op_sel_hi:[1,0]
	v_pk_add_f16 v28, v16, v21 op_sel:[0,1] op_sel_hi:[1,0] neg_lo:[0,1] neg_hi:[0,1]
	v_sub_f16_e32 v26, v26, v19
	s_delay_alu instid0(VALU_DEP_4) | instskip(NEXT) | instid1(VALU_DEP_3)
	v_sub_f16_e32 v16, v20, v22
	v_bfi_b32 v19, 0xffff, v27, v28
	s_delay_alu instid0(VALU_DEP_3)
	v_sub_f16_e32 v20, v26, v21
                                        ; implicit-def: $vgpr27
.LBB0_15:
	s_wait_alu 0xfffe
	s_and_not1_saveexec_b32 s0, s0
	s_cbranch_execz .LBB0_17
; %bb.16:
	ds_load_u16 v19, v0 offset:450
	s_wait_dscnt 0x1
	s_wait_alu 0xfffe
	v_alignbit_b32 v16, s0, v27, 16
	v_lshrrev_b32_e32 v20, 16, v27
	s_delay_alu instid0(VALU_DEP_2) | instskip(NEXT) | instid1(VALU_DEP_2)
	v_pk_add_f16 v21, v16, v27
	v_sub_f16_e32 v16, v27, v20
	v_mov_b32_e32 v20, 0
	s_wait_dscnt 0x0
	v_xor_b32_e32 v22, 0x8000, v19
	v_pack_b32_f16 v19, v21, 0
	ds_store_b16 v0, v22 offset:450
.LBB0_17:
	s_wait_alu 0xfffe
	s_or_b32 exec_lo, exec_lo, s0
	s_clause 0x4
	global_load_b32 v21, v[23:24], off offset:868
	global_load_b32 v17, v[17:18], off offset:868
	;; [unrolled: 1-line block ×5, first 2 shown]
	v_lshl_add_u32 v7, v7, 2, v0
	ds_store_b16 v4, v20 offset:898
	ds_store_b32 v25, v19
	ds_store_b16 v4, v16 offset:896
	ds_load_b32 v11, v7
	ds_load_b32 v13, v4 offset:832
	global_load_b32 v8, v[8:9], off offset:868
	s_wait_dscnt 0x0
	v_pk_add_f16 v9, v11, v13 neg_lo:[0,1] neg_hi:[0,1]
	v_pk_add_f16 v11, v11, v13
	s_delay_alu instid0(VALU_DEP_1) | instskip(SKIP_1) | instid1(VALU_DEP_2)
	v_bfi_b32 v13, 0xffff, v9, v11
	v_bfi_b32 v9, 0xffff, v11, v9
	v_pk_mul_f16 v11, v13, 0.5 op_sel_hi:[1,0]
	s_delay_alu instid0(VALU_DEP_2) | instskip(SKIP_1) | instid1(VALU_DEP_1)
	v_pk_mul_f16 v9, v9, 0.5 op_sel_hi:[1,0]
	s_wait_loadcnt 0x5
	v_pk_fma_f16 v13, v21, v11, v9 op_sel:[1,0,0]
	v_pk_mul_f16 v15, v21, v11 op_sel_hi:[0,1]
	v_pk_fma_f16 v16, v21, v11, v9 op_sel:[1,0,0] neg_lo:[1,0,0] neg_hi:[1,0,0]
	v_pk_fma_f16 v9, v21, v11, v9 op_sel:[1,0,0] neg_lo:[0,0,1] neg_hi:[0,0,1]
	s_delay_alu instid0(VALU_DEP_3) | instskip(SKIP_1) | instid1(VALU_DEP_4)
	v_pk_add_f16 v11, v13, v15 op_sel:[0,1] op_sel_hi:[1,0]
	v_pk_add_f16 v13, v13, v15 op_sel:[0,1] op_sel_hi:[1,0] neg_lo:[0,1] neg_hi:[0,1]
	v_pk_add_f16 v16, v16, v15 op_sel:[0,1] op_sel_hi:[1,0] neg_lo:[0,1] neg_hi:[0,1]
	s_delay_alu instid0(VALU_DEP_4) | instskip(NEXT) | instid1(VALU_DEP_3)
	v_pk_add_f16 v9, v9, v15 op_sel:[0,1] op_sel_hi:[1,0] neg_lo:[0,1] neg_hi:[0,1]
	v_bfi_b32 v11, 0xffff, v11, v13
	s_delay_alu instid0(VALU_DEP_2)
	v_bfi_b32 v9, 0xffff, v16, v9
	ds_store_b32 v7, v11
	ds_store_b32 v4, v9 offset:832
	ds_load_b32 v7, v33
	ds_load_b32 v9, v4 offset:768
	s_wait_dscnt 0x0
	v_pk_add_f16 v11, v7, v9 neg_lo:[0,1] neg_hi:[0,1]
	v_pk_add_f16 v7, v7, v9
	s_delay_alu instid0(VALU_DEP_1) | instskip(SKIP_1) | instid1(VALU_DEP_2)
	v_bfi_b32 v9, 0xffff, v11, v7
	v_bfi_b32 v7, 0xffff, v7, v11
	v_pk_mul_f16 v9, v9, 0.5 op_sel_hi:[1,0]
	s_delay_alu instid0(VALU_DEP_2) | instskip(SKIP_1) | instid1(VALU_DEP_2)
	v_pk_mul_f16 v7, v7, 0.5 op_sel_hi:[1,0]
	s_wait_loadcnt 0x4
	v_pk_mul_f16 v13, v17, v9 op_sel_hi:[0,1]
	s_delay_alu instid0(VALU_DEP_2) | instskip(SKIP_2) | instid1(VALU_DEP_3)
	v_pk_fma_f16 v11, v17, v9, v7 op_sel:[1,0,0]
	v_pk_fma_f16 v15, v17, v9, v7 op_sel:[1,0,0] neg_lo:[1,0,0] neg_hi:[1,0,0]
	v_pk_fma_f16 v7, v17, v9, v7 op_sel:[1,0,0] neg_lo:[0,0,1] neg_hi:[0,0,1]
	v_pk_add_f16 v9, v11, v13 op_sel:[0,1] op_sel_hi:[1,0]
	v_pk_add_f16 v11, v11, v13 op_sel:[0,1] op_sel_hi:[1,0] neg_lo:[0,1] neg_hi:[0,1]
	s_delay_alu instid0(VALU_DEP_4) | instskip(NEXT) | instid1(VALU_DEP_4)
	v_pk_add_f16 v15, v15, v13 op_sel:[0,1] op_sel_hi:[1,0] neg_lo:[0,1] neg_hi:[0,1]
	v_pk_add_f16 v7, v7, v13 op_sel:[0,1] op_sel_hi:[1,0] neg_lo:[0,1] neg_hi:[0,1]
	s_delay_alu instid0(VALU_DEP_3) | instskip(NEXT) | instid1(VALU_DEP_2)
	v_bfi_b32 v9, 0xffff, v9, v11
	v_bfi_b32 v7, 0xffff, v15, v7
	ds_store_b32 v33, v9
	ds_store_b32 v4, v7 offset:768
	ds_load_b32 v7, v32
	ds_load_b32 v9, v4 offset:704
	s_wait_dscnt 0x0
	v_pk_add_f16 v11, v7, v9 neg_lo:[0,1] neg_hi:[0,1]
	v_pk_add_f16 v7, v7, v9
	s_delay_alu instid0(VALU_DEP_1) | instskip(SKIP_1) | instid1(VALU_DEP_2)
	v_bfi_b32 v9, 0xffff, v11, v7
	v_bfi_b32 v7, 0xffff, v7, v11
	v_pk_mul_f16 v9, v9, 0.5 op_sel_hi:[1,0]
	s_delay_alu instid0(VALU_DEP_2) | instskip(SKIP_1) | instid1(VALU_DEP_2)
	v_pk_mul_f16 v7, v7, 0.5 op_sel_hi:[1,0]
	s_wait_loadcnt 0x3
	v_pk_mul_f16 v13, v14, v9 op_sel_hi:[0,1]
	s_delay_alu instid0(VALU_DEP_2) | instskip(SKIP_2) | instid1(VALU_DEP_3)
	v_pk_fma_f16 v11, v14, v9, v7 op_sel:[1,0,0]
	v_pk_fma_f16 v15, v14, v9, v7 op_sel:[1,0,0] neg_lo:[1,0,0] neg_hi:[1,0,0]
	v_pk_fma_f16 v7, v14, v9, v7 op_sel:[1,0,0] neg_lo:[0,0,1] neg_hi:[0,0,1]
	v_pk_add_f16 v9, v11, v13 op_sel:[0,1] op_sel_hi:[1,0]
	v_pk_add_f16 v11, v11, v13 op_sel:[0,1] op_sel_hi:[1,0] neg_lo:[0,1] neg_hi:[0,1]
	s_delay_alu instid0(VALU_DEP_4) | instskip(NEXT) | instid1(VALU_DEP_4)
	v_pk_add_f16 v14, v15, v13 op_sel:[0,1] op_sel_hi:[1,0] neg_lo:[0,1] neg_hi:[0,1]
	v_pk_add_f16 v7, v7, v13 op_sel:[0,1] op_sel_hi:[1,0] neg_lo:[0,1] neg_hi:[0,1]
	s_delay_alu instid0(VALU_DEP_3) | instskip(NEXT) | instid1(VALU_DEP_2)
	v_bfi_b32 v9, 0xffff, v9, v11
	v_bfi_b32 v7, 0xffff, v14, v7
	ds_store_b32 v32, v9
	ds_store_b32 v4, v7 offset:704
	ds_load_b32 v7, v31
	ds_load_b32 v9, v4 offset:640
	s_wait_dscnt 0x0
	v_pk_add_f16 v11, v7, v9 neg_lo:[0,1] neg_hi:[0,1]
	v_pk_add_f16 v7, v7, v9
	s_delay_alu instid0(VALU_DEP_1) | instskip(SKIP_1) | instid1(VALU_DEP_2)
	v_bfi_b32 v9, 0xffff, v11, v7
	v_bfi_b32 v7, 0xffff, v7, v11
	v_pk_mul_f16 v9, v9, 0.5 op_sel_hi:[1,0]
	s_delay_alu instid0(VALU_DEP_2) | instskip(SKIP_1) | instid1(VALU_DEP_2)
	v_pk_mul_f16 v11, v7, 0.5 op_sel_hi:[1,0]
	s_wait_loadcnt 0x2
	v_pk_mul_f16 v13, v12, v9 op_sel:[1,0]
	v_pk_mul_f16 v9, v12, v9 op_sel_hi:[0,1]
	s_delay_alu instid0(VALU_DEP_3) | instskip(NEXT) | instid1(VALU_DEP_3)
	v_lshrrev_b32_e32 v12, 16, v11
	v_lshrrev_b32_e32 v14, 16, v13
	v_pk_fma_f16 v7, v7, 0.5, v13 op_sel_hi:[1,0,1]
	v_sub_f16_e32 v11, v11, v13
	s_delay_alu instid0(VALU_DEP_3) | instskip(NEXT) | instid1(VALU_DEP_3)
	v_sub_f16_e32 v12, v14, v12
	v_pk_add_f16 v13, v7, v9 op_sel:[0,1] op_sel_hi:[1,0]
	v_pk_add_f16 v7, v7, v9 op_sel:[0,1] op_sel_hi:[1,0] neg_lo:[0,1] neg_hi:[0,1]
	v_lshrrev_b32_e32 v14, 16, v9
	s_delay_alu instid0(VALU_DEP_4) | instskip(NEXT) | instid1(VALU_DEP_3)
	v_sub_f16_e32 v9, v12, v9
	v_bfi_b32 v7, 0xffff, v13, v7
	s_delay_alu instid0(VALU_DEP_3)
	v_sub_f16_e32 v11, v11, v14
	ds_store_b16 v4, v9 offset:642
	ds_store_b32 v31, v7
	ds_store_b16 v4, v11 offset:640
	ds_load_b32 v7, v30
	ds_load_b32 v9, v4 offset:576
	s_wait_dscnt 0x0
	v_pk_add_f16 v11, v7, v9 neg_lo:[0,1] neg_hi:[0,1]
	v_pk_add_f16 v7, v7, v9
	s_delay_alu instid0(VALU_DEP_1) | instskip(SKIP_1) | instid1(VALU_DEP_2)
	v_bfi_b32 v9, 0xffff, v11, v7
	v_bfi_b32 v7, 0xffff, v7, v11
	v_pk_mul_f16 v9, v9, 0.5 op_sel_hi:[1,0]
	s_delay_alu instid0(VALU_DEP_2) | instskip(SKIP_1) | instid1(VALU_DEP_2)
	v_pk_mul_f16 v11, v7, 0.5 op_sel_hi:[1,0]
	s_wait_loadcnt 0x1
	v_pk_mul_f16 v12, v10, v9 op_sel:[1,0]
	v_pk_mul_f16 v9, v10, v9 op_sel_hi:[0,1]
	s_delay_alu instid0(VALU_DEP_3) | instskip(NEXT) | instid1(VALU_DEP_3)
	v_lshrrev_b32_e32 v10, 16, v11
	v_lshrrev_b32_e32 v13, 16, v12
	v_pk_fma_f16 v7, v7, 0.5, v12 op_sel_hi:[1,0,1]
	v_sub_f16_e32 v11, v11, v12
	s_delay_alu instid0(VALU_DEP_3) | instskip(NEXT) | instid1(VALU_DEP_3)
	v_sub_f16_e32 v10, v13, v10
	v_pk_add_f16 v12, v7, v9 op_sel:[0,1] op_sel_hi:[1,0]
	v_pk_add_f16 v7, v7, v9 op_sel:[0,1] op_sel_hi:[1,0] neg_lo:[0,1] neg_hi:[0,1]
	v_lshrrev_b32_e32 v13, 16, v9
	s_delay_alu instid0(VALU_DEP_4) | instskip(NEXT) | instid1(VALU_DEP_3)
	v_sub_f16_e32 v9, v10, v9
	v_bfi_b32 v7, 0xffff, v12, v7
	s_delay_alu instid0(VALU_DEP_3)
	v_sub_f16_e32 v10, v11, v13
	ds_store_b16 v4, v9 offset:578
	ds_store_b32 v30, v7
	ds_store_b16 v4, v10 offset:576
	ds_load_b32 v7, v29
	ds_load_b32 v9, v4 offset:512
	s_wait_dscnt 0x0
	v_pk_add_f16 v10, v7, v9 neg_lo:[0,1] neg_hi:[0,1]
	v_pk_add_f16 v7, v7, v9
	s_delay_alu instid0(VALU_DEP_1) | instskip(SKIP_1) | instid1(VALU_DEP_2)
	v_bfi_b32 v9, 0xffff, v10, v7
	v_bfi_b32 v7, 0xffff, v7, v10
	v_pk_mul_f16 v9, v9, 0.5 op_sel_hi:[1,0]
	s_delay_alu instid0(VALU_DEP_2) | instskip(SKIP_1) | instid1(VALU_DEP_2)
	v_pk_mul_f16 v7, v7, 0.5 op_sel_hi:[1,0]
	s_wait_loadcnt 0x0
	v_pk_mul_f16 v11, v8, v9 op_sel_hi:[0,1]
	s_delay_alu instid0(VALU_DEP_2) | instskip(SKIP_2) | instid1(VALU_DEP_3)
	v_pk_fma_f16 v10, v8, v9, v7 op_sel:[1,0,0]
	v_pk_fma_f16 v12, v8, v9, v7 op_sel:[1,0,0] neg_lo:[1,0,0] neg_hi:[1,0,0]
	v_pk_fma_f16 v7, v8, v9, v7 op_sel:[1,0,0] neg_lo:[0,0,1] neg_hi:[0,0,1]
	v_pk_add_f16 v8, v10, v11 op_sel:[0,1] op_sel_hi:[1,0]
	v_pk_add_f16 v9, v10, v11 op_sel:[0,1] op_sel_hi:[1,0] neg_lo:[0,1] neg_hi:[0,1]
	s_delay_alu instid0(VALU_DEP_4) | instskip(NEXT) | instid1(VALU_DEP_4)
	v_pk_add_f16 v10, v12, v11 op_sel:[0,1] op_sel_hi:[1,0] neg_lo:[0,1] neg_hi:[0,1]
	v_pk_add_f16 v7, v7, v11 op_sel:[0,1] op_sel_hi:[1,0] neg_lo:[0,1] neg_hi:[0,1]
	s_delay_alu instid0(VALU_DEP_3) | instskip(NEXT) | instid1(VALU_DEP_2)
	v_bfi_b32 v8, 0xffff, v8, v9
	v_bfi_b32 v7, 0xffff, v10, v7
	ds_store_b32 v29, v8
	ds_store_b32 v4, v7 offset:512
	global_wb scope:SCOPE_SE
	s_wait_dscnt 0x0
	s_barrier_signal -1
	s_barrier_wait -1
	global_inv scope:SCOPE_SE
	s_and_saveexec_b32 s0, vcc_lo
	s_cbranch_execz .LBB0_20
; %bb.18:
	v_mul_lo_u32 v8, s3, v5
	v_mul_lo_u32 v9, s2, v6
	v_mad_co_u64_u32 v[6:7], null, s2, v5, 0
	v_mov_b32_e32 v4, 0
	v_lshl_add_u32 v5, v3, 2, v0
	v_lshlrev_b64_e32 v[0:1], 2, v[1:2]
	v_add_nc_u32_e32 v10, 32, v3
	s_delay_alu instid0(VALU_DEP_4) | instskip(SKIP_4) | instid1(VALU_DEP_4)
	v_dual_mov_b32 v19, v4 :: v_dual_add_nc_u32 v18, 64, v3
	v_add3_u32 v7, v7, v9, v8
	v_dual_mov_b32 v9, v4 :: v_dual_add_nc_u32 v8, 16, v3
	v_lshlrev_b64_e32 v[14:15], 2, v[3:4]
	v_mov_b32_e32 v11, v4
	v_lshlrev_b64_e32 v[6:7], 2, v[6:7]
	ds_load_2addr_b32 v[12:13], v5 offset1:16
	v_dual_mov_b32 v21, v4 :: v_dual_add_nc_u32 v20, 0x50, v3
	v_lshlrev_b64_e32 v[18:19], 2, v[18:19]
	ds_load_2addr_b32 v[22:23], v5 offset0:64 offset1:80
	v_add_co_u32 v2, vcc_lo, s6, v6
	s_wait_alu 0xfffd
	v_add_co_ci_u32_e32 v16, vcc_lo, s7, v7, vcc_lo
	v_lshlrev_b64_e32 v[6:7], 2, v[8:9]
	s_delay_alu instid0(VALU_DEP_3) | instskip(SKIP_1) | instid1(VALU_DEP_3)
	v_add_co_u32 v0, vcc_lo, v2, v0
	s_wait_alu 0xfffd
	v_add_co_ci_u32_e32 v1, vcc_lo, v16, v1, vcc_lo
	v_dual_mov_b32 v17, v4 :: v_dual_add_nc_u32 v16, 48, v3
	v_lshlrev_b64_e32 v[8:9], 2, v[10:11]
	v_add_co_u32 v10, vcc_lo, v0, v14
	s_wait_alu 0xfffd
	v_add_co_ci_u32_e32 v11, vcc_lo, v1, v15, vcc_lo
	v_add_co_u32 v6, vcc_lo, v0, v6
	v_lshlrev_b64_e32 v[16:17], 2, v[16:17]
	s_wait_alu 0xfffd
	v_add_co_ci_u32_e32 v7, vcc_lo, v1, v7, vcc_lo
	ds_load_2addr_b32 v[14:15], v5 offset0:32 offset1:48
	v_add_co_u32 v8, vcc_lo, v0, v8
	v_dual_mov_b32 v25, v4 :: v_dual_add_nc_u32 v24, 0x60, v3
	s_wait_alu 0xfffd
	v_add_co_ci_u32_e32 v9, vcc_lo, v1, v9, vcc_lo
	v_add_co_u32 v16, vcc_lo, v0, v16
	v_lshlrev_b64_e32 v[20:21], 2, v[20:21]
	ds_load_2addr_b32 v[28:29], v5 offset0:96 offset1:112
	v_dual_mov_b32 v27, v4 :: v_dual_add_nc_u32 v26, 0x70, v3
	s_wait_alu 0xfffd
	v_add_co_ci_u32_e32 v17, vcc_lo, v1, v17, vcc_lo
	v_add_co_u32 v18, vcc_lo, v0, v18
	v_lshlrev_b64_e32 v[24:25], 2, v[24:25]
	s_wait_alu 0xfffd
	v_add_co_ci_u32_e32 v19, vcc_lo, v1, v19, vcc_lo
	v_add_co_u32 v20, vcc_lo, v0, v20
	v_lshlrev_b64_e32 v[26:27], 2, v[26:27]
	s_wait_alu 0xfffd
	v_add_co_ci_u32_e32 v21, vcc_lo, v1, v21, vcc_lo
	v_dual_mov_b32 v31, v4 :: v_dual_add_nc_u32 v30, 0x80, v3
	v_add_co_u32 v24, vcc_lo, v0, v24
	s_wait_alu 0xfffd
	v_add_co_ci_u32_e32 v25, vcc_lo, v1, v25, vcc_lo
	v_dual_mov_b32 v33, v4 :: v_dual_add_nc_u32 v32, 0x90, v3
	v_add_co_u32 v26, vcc_lo, v0, v26
	v_lshlrev_b64_e32 v[30:31], 2, v[30:31]
	s_wait_alu 0xfffd
	v_add_co_ci_u32_e32 v27, vcc_lo, v1, v27, vcc_lo
	s_wait_dscnt 0x3
	s_clause 0x1
	global_store_b32 v[10:11], v12, off
	global_store_b32 v[6:7], v13, off
	s_wait_dscnt 0x1
	s_clause 0x3
	global_store_b32 v[8:9], v14, off
	global_store_b32 v[16:17], v15, off
	;; [unrolled: 1-line block ×4, first 2 shown]
	s_wait_dscnt 0x0
	s_clause 0x1
	global_store_b32 v[24:25], v28, off
	global_store_b32 v[26:27], v29, off
	v_dual_mov_b32 v13, v4 :: v_dual_add_nc_u32 v12, 0xa0, v3
	v_lshlrev_b64_e32 v[8:9], 2, v[32:33]
	v_dual_mov_b32 v17, v4 :: v_dual_add_nc_u32 v16, 0xb0, v3
	v_add_co_u32 v10, vcc_lo, v0, v30
	s_delay_alu instid0(VALU_DEP_4)
	v_lshlrev_b64_e32 v[12:13], 2, v[12:13]
	v_dual_mov_b32 v19, v4 :: v_dual_add_nc_u32 v18, 0xc0, v3
	s_wait_alu 0xfffd
	v_add_co_ci_u32_e32 v11, vcc_lo, v1, v31, vcc_lo
	ds_load_2addr_b32 v[6:7], v5 offset0:128 offset1:144
	v_add_co_u32 v8, vcc_lo, v0, v8
	v_lshlrev_b64_e32 v[16:17], 2, v[16:17]
	v_dual_mov_b32 v23, v4 :: v_dual_add_nc_u32 v22, 0xd0, v3
	s_wait_alu 0xfffd
	v_add_co_ci_u32_e32 v9, vcc_lo, v1, v9, vcc_lo
	ds_load_2addr_b32 v[14:15], v5 offset0:160 offset1:176
	v_add_co_u32 v12, vcc_lo, v0, v12
	v_lshlrev_b64_e32 v[18:19], 2, v[18:19]
	ds_load_2addr_b32 v[20:21], v5 offset0:192 offset1:208
	s_wait_alu 0xfffd
	v_add_co_ci_u32_e32 v13, vcc_lo, v1, v13, vcc_lo
	v_add_co_u32 v16, vcc_lo, v0, v16
	v_lshlrev_b64_e32 v[22:23], 2, v[22:23]
	s_wait_alu 0xfffd
	v_add_co_ci_u32_e32 v17, vcc_lo, v1, v17, vcc_lo
	v_add_co_u32 v18, vcc_lo, v0, v18
	s_wait_alu 0xfffd
	v_add_co_ci_u32_e32 v19, vcc_lo, v1, v19, vcc_lo
	v_add_co_u32 v22, vcc_lo, v0, v22
	s_wait_alu 0xfffd
	v_add_co_ci_u32_e32 v23, vcc_lo, v1, v23, vcc_lo
	v_cmp_eq_u32_e32 vcc_lo, 15, v3
	s_wait_dscnt 0x2
	s_clause 0x1
	global_store_b32 v[10:11], v6, off
	global_store_b32 v[8:9], v7, off
	s_wait_dscnt 0x1
	s_clause 0x1
	global_store_b32 v[12:13], v14, off
	global_store_b32 v[16:17], v15, off
	;; [unrolled: 4-line block ×3, first 2 shown]
	s_and_b32 exec_lo, exec_lo, vcc_lo
	s_cbranch_execz .LBB0_20
; %bb.19:
	ds_load_b32 v2, v5 offset:836
	s_wait_dscnt 0x0
	global_store_b32 v[0:1], v2, off offset:896
.LBB0_20:
	s_nop 0
	s_sendmsg sendmsg(MSG_DEALLOC_VGPRS)
	s_endpgm
	.section	.rodata,"a",@progbits
	.p2align	6, 0x0
	.amdhsa_kernel fft_rtc_back_len224_factors_7_2_2_2_2_2_wgs_64_tpt_16_halfLds_half_op_CI_CI_unitstride_sbrr_R2C_dirReg
		.amdhsa_group_segment_fixed_size 0
		.amdhsa_private_segment_fixed_size 0
		.amdhsa_kernarg_size 104
		.amdhsa_user_sgpr_count 2
		.amdhsa_user_sgpr_dispatch_ptr 0
		.amdhsa_user_sgpr_queue_ptr 0
		.amdhsa_user_sgpr_kernarg_segment_ptr 1
		.amdhsa_user_sgpr_dispatch_id 0
		.amdhsa_user_sgpr_private_segment_size 0
		.amdhsa_wavefront_size32 1
		.amdhsa_uses_dynamic_stack 0
		.amdhsa_enable_private_segment 0
		.amdhsa_system_sgpr_workgroup_id_x 1
		.amdhsa_system_sgpr_workgroup_id_y 0
		.amdhsa_system_sgpr_workgroup_id_z 0
		.amdhsa_system_sgpr_workgroup_info 0
		.amdhsa_system_vgpr_workitem_id 0
		.amdhsa_next_free_vgpr 85
		.amdhsa_next_free_sgpr 39
		.amdhsa_reserve_vcc 1
		.amdhsa_float_round_mode_32 0
		.amdhsa_float_round_mode_16_64 0
		.amdhsa_float_denorm_mode_32 3
		.amdhsa_float_denorm_mode_16_64 3
		.amdhsa_fp16_overflow 0
		.amdhsa_workgroup_processor_mode 1
		.amdhsa_memory_ordered 1
		.amdhsa_forward_progress 0
		.amdhsa_round_robin_scheduling 0
		.amdhsa_exception_fp_ieee_invalid_op 0
		.amdhsa_exception_fp_denorm_src 0
		.amdhsa_exception_fp_ieee_div_zero 0
		.amdhsa_exception_fp_ieee_overflow 0
		.amdhsa_exception_fp_ieee_underflow 0
		.amdhsa_exception_fp_ieee_inexact 0
		.amdhsa_exception_int_div_zero 0
	.end_amdhsa_kernel
	.text
.Lfunc_end0:
	.size	fft_rtc_back_len224_factors_7_2_2_2_2_2_wgs_64_tpt_16_halfLds_half_op_CI_CI_unitstride_sbrr_R2C_dirReg, .Lfunc_end0-fft_rtc_back_len224_factors_7_2_2_2_2_2_wgs_64_tpt_16_halfLds_half_op_CI_CI_unitstride_sbrr_R2C_dirReg
                                        ; -- End function
	.section	.AMDGPU.csdata,"",@progbits
; Kernel info:
; codeLenInByte = 10976
; NumSgprs: 41
; NumVgprs: 85
; ScratchSize: 0
; MemoryBound: 0
; FloatMode: 240
; IeeeMode: 1
; LDSByteSize: 0 bytes/workgroup (compile time only)
; SGPRBlocks: 5
; VGPRBlocks: 10
; NumSGPRsForWavesPerEU: 41
; NumVGPRsForWavesPerEU: 85
; Occupancy: 16
; WaveLimiterHint : 1
; COMPUTE_PGM_RSRC2:SCRATCH_EN: 0
; COMPUTE_PGM_RSRC2:USER_SGPR: 2
; COMPUTE_PGM_RSRC2:TRAP_HANDLER: 0
; COMPUTE_PGM_RSRC2:TGID_X_EN: 1
; COMPUTE_PGM_RSRC2:TGID_Y_EN: 0
; COMPUTE_PGM_RSRC2:TGID_Z_EN: 0
; COMPUTE_PGM_RSRC2:TIDIG_COMP_CNT: 0
	.text
	.p2alignl 7, 3214868480
	.fill 96, 4, 3214868480
	.type	__hip_cuid_c54642ab69bc9f88,@object ; @__hip_cuid_c54642ab69bc9f88
	.section	.bss,"aw",@nobits
	.globl	__hip_cuid_c54642ab69bc9f88
__hip_cuid_c54642ab69bc9f88:
	.byte	0                               ; 0x0
	.size	__hip_cuid_c54642ab69bc9f88, 1

	.ident	"AMD clang version 19.0.0git (https://github.com/RadeonOpenCompute/llvm-project roc-6.4.0 25133 c7fe45cf4b819c5991fe208aaa96edf142730f1d)"
	.section	".note.GNU-stack","",@progbits
	.addrsig
	.addrsig_sym __hip_cuid_c54642ab69bc9f88
	.amdgpu_metadata
---
amdhsa.kernels:
  - .args:
      - .actual_access:  read_only
        .address_space:  global
        .offset:         0
        .size:           8
        .value_kind:     global_buffer
      - .offset:         8
        .size:           8
        .value_kind:     by_value
      - .actual_access:  read_only
        .address_space:  global
        .offset:         16
        .size:           8
        .value_kind:     global_buffer
      - .actual_access:  read_only
        .address_space:  global
        .offset:         24
        .size:           8
        .value_kind:     global_buffer
      - .actual_access:  read_only
        .address_space:  global
        .offset:         32
        .size:           8
        .value_kind:     global_buffer
      - .offset:         40
        .size:           8
        .value_kind:     by_value
      - .actual_access:  read_only
        .address_space:  global
        .offset:         48
        .size:           8
        .value_kind:     global_buffer
      - .actual_access:  read_only
        .address_space:  global
        .offset:         56
        .size:           8
        .value_kind:     global_buffer
      - .offset:         64
        .size:           4
        .value_kind:     by_value
      - .actual_access:  read_only
        .address_space:  global
        .offset:         72
        .size:           8
        .value_kind:     global_buffer
      - .actual_access:  read_only
        .address_space:  global
        .offset:         80
        .size:           8
        .value_kind:     global_buffer
      - .actual_access:  read_only
        .address_space:  global
        .offset:         88
        .size:           8
        .value_kind:     global_buffer
      - .actual_access:  write_only
        .address_space:  global
        .offset:         96
        .size:           8
        .value_kind:     global_buffer
    .group_segment_fixed_size: 0
    .kernarg_segment_align: 8
    .kernarg_segment_size: 104
    .language:       OpenCL C
    .language_version:
      - 2
      - 0
    .max_flat_workgroup_size: 64
    .name:           fft_rtc_back_len224_factors_7_2_2_2_2_2_wgs_64_tpt_16_halfLds_half_op_CI_CI_unitstride_sbrr_R2C_dirReg
    .private_segment_fixed_size: 0
    .sgpr_count:     41
    .sgpr_spill_count: 0
    .symbol:         fft_rtc_back_len224_factors_7_2_2_2_2_2_wgs_64_tpt_16_halfLds_half_op_CI_CI_unitstride_sbrr_R2C_dirReg.kd
    .uniform_work_group_size: 1
    .uses_dynamic_stack: false
    .vgpr_count:     85
    .vgpr_spill_count: 0
    .wavefront_size: 32
    .workgroup_processor_mode: 1
amdhsa.target:   amdgcn-amd-amdhsa--gfx1201
amdhsa.version:
  - 1
  - 2
...

	.end_amdgpu_metadata
